;; amdgpu-corpus repo=ROCm/rocFFT kind=compiled arch=gfx906 opt=O3
	.text
	.amdgcn_target "amdgcn-amd-amdhsa--gfx906"
	.amdhsa_code_object_version 6
	.protected	fft_rtc_back_len1024_factors_8_8_4_4_wgs_128_tpt_128_halfLds_dp_ip_CI_unitstride_sbrr_R2C_dirReg ; -- Begin function fft_rtc_back_len1024_factors_8_8_4_4_wgs_128_tpt_128_halfLds_dp_ip_CI_unitstride_sbrr_R2C_dirReg
	.globl	fft_rtc_back_len1024_factors_8_8_4_4_wgs_128_tpt_128_halfLds_dp_ip_CI_unitstride_sbrr_R2C_dirReg
	.p2align	8
	.type	fft_rtc_back_len1024_factors_8_8_4_4_wgs_128_tpt_128_halfLds_dp_ip_CI_unitstride_sbrr_R2C_dirReg,@function
fft_rtc_back_len1024_factors_8_8_4_4_wgs_128_tpt_128_halfLds_dp_ip_CI_unitstride_sbrr_R2C_dirReg: ; @fft_rtc_back_len1024_factors_8_8_4_4_wgs_128_tpt_128_halfLds_dp_ip_CI_unitstride_sbrr_R2C_dirReg
; %bb.0:
	s_load_dwordx4 s[8:11], s[4:5], 0x0
	s_load_dwordx2 s[2:3], s[4:5], 0x50
	s_load_dwordx2 s[12:13], s[4:5], 0x18
	v_mov_b32_e32 v3, 0
	v_mov_b32_e32 v1, 0
	s_waitcnt lgkmcnt(0)
	v_cmp_lt_u64_e64 s[0:1], s[10:11], 2
	v_mov_b32_e32 v5, s6
	v_mov_b32_e32 v6, v3
	s_and_b64 vcc, exec, s[0:1]
	v_mov_b32_e32 v2, 0
	s_cbranch_vccnz .LBB0_8
; %bb.1:
	s_load_dwordx2 s[0:1], s[4:5], 0x10
	s_add_u32 s6, s12, 8
	s_addc_u32 s7, s13, 0
	v_mov_b32_e32 v1, 0
	v_mov_b32_e32 v2, 0
	s_waitcnt lgkmcnt(0)
	s_add_u32 s14, s0, 8
	s_addc_u32 s15, s1, 0
	s_mov_b64 s[16:17], 1
.LBB0_2:                                ; =>This Inner Loop Header: Depth=1
	s_load_dwordx2 s[18:19], s[14:15], 0x0
                                        ; implicit-def: $vgpr7_vgpr8
	s_waitcnt lgkmcnt(0)
	v_or_b32_e32 v4, s19, v6
	v_cmp_ne_u64_e32 vcc, 0, v[3:4]
	s_and_saveexec_b64 s[0:1], vcc
	s_xor_b64 s[20:21], exec, s[0:1]
	s_cbranch_execz .LBB0_4
; %bb.3:                                ;   in Loop: Header=BB0_2 Depth=1
	v_cvt_f32_u32_e32 v4, s18
	v_cvt_f32_u32_e32 v7, s19
	s_sub_u32 s0, 0, s18
	s_subb_u32 s1, 0, s19
	v_mac_f32_e32 v4, 0x4f800000, v7
	v_rcp_f32_e32 v4, v4
	v_mul_f32_e32 v4, 0x5f7ffffc, v4
	v_mul_f32_e32 v7, 0x2f800000, v4
	v_trunc_f32_e32 v7, v7
	v_mac_f32_e32 v4, 0xcf800000, v7
	v_cvt_u32_f32_e32 v7, v7
	v_cvt_u32_f32_e32 v4, v4
	v_mul_lo_u32 v8, s0, v7
	v_mul_hi_u32 v9, s0, v4
	v_mul_lo_u32 v11, s1, v4
	v_mul_lo_u32 v10, s0, v4
	v_add_u32_e32 v8, v9, v8
	v_add_u32_e32 v8, v8, v11
	v_mul_hi_u32 v9, v4, v10
	v_mul_lo_u32 v11, v4, v8
	v_mul_hi_u32 v13, v4, v8
	v_mul_hi_u32 v12, v7, v10
	v_mul_lo_u32 v10, v7, v10
	v_mul_hi_u32 v14, v7, v8
	v_add_co_u32_e32 v9, vcc, v9, v11
	v_addc_co_u32_e32 v11, vcc, 0, v13, vcc
	v_mul_lo_u32 v8, v7, v8
	v_add_co_u32_e32 v9, vcc, v9, v10
	v_addc_co_u32_e32 v9, vcc, v11, v12, vcc
	v_addc_co_u32_e32 v10, vcc, 0, v14, vcc
	v_add_co_u32_e32 v8, vcc, v9, v8
	v_addc_co_u32_e32 v9, vcc, 0, v10, vcc
	v_add_co_u32_e32 v4, vcc, v4, v8
	v_addc_co_u32_e32 v7, vcc, v7, v9, vcc
	v_mul_lo_u32 v8, s0, v7
	v_mul_hi_u32 v9, s0, v4
	v_mul_lo_u32 v10, s1, v4
	v_mul_lo_u32 v11, s0, v4
	v_add_u32_e32 v8, v9, v8
	v_add_u32_e32 v8, v8, v10
	v_mul_lo_u32 v12, v4, v8
	v_mul_hi_u32 v13, v4, v11
	v_mul_hi_u32 v14, v4, v8
	;; [unrolled: 1-line block ×3, first 2 shown]
	v_mul_lo_u32 v11, v7, v11
	v_mul_hi_u32 v9, v7, v8
	v_add_co_u32_e32 v12, vcc, v13, v12
	v_addc_co_u32_e32 v13, vcc, 0, v14, vcc
	v_mul_lo_u32 v8, v7, v8
	v_add_co_u32_e32 v11, vcc, v12, v11
	v_addc_co_u32_e32 v10, vcc, v13, v10, vcc
	v_addc_co_u32_e32 v9, vcc, 0, v9, vcc
	v_add_co_u32_e32 v8, vcc, v10, v8
	v_addc_co_u32_e32 v9, vcc, 0, v9, vcc
	v_add_co_u32_e32 v4, vcc, v4, v8
	v_addc_co_u32_e32 v9, vcc, v7, v9, vcc
	v_mad_u64_u32 v[7:8], s[0:1], v5, v9, 0
	v_mul_hi_u32 v10, v5, v4
	v_add_co_u32_e32 v11, vcc, v10, v7
	v_addc_co_u32_e32 v12, vcc, 0, v8, vcc
	v_mad_u64_u32 v[7:8], s[0:1], v6, v4, 0
	v_mad_u64_u32 v[9:10], s[0:1], v6, v9, 0
	v_add_co_u32_e32 v4, vcc, v11, v7
	v_addc_co_u32_e32 v4, vcc, v12, v8, vcc
	v_addc_co_u32_e32 v7, vcc, 0, v10, vcc
	v_add_co_u32_e32 v4, vcc, v4, v9
	v_addc_co_u32_e32 v9, vcc, 0, v7, vcc
	v_mul_lo_u32 v10, s19, v4
	v_mul_lo_u32 v11, s18, v9
	v_mad_u64_u32 v[7:8], s[0:1], s18, v4, 0
	v_add3_u32 v8, v8, v11, v10
	v_sub_u32_e32 v10, v6, v8
	v_mov_b32_e32 v11, s19
	v_sub_co_u32_e32 v7, vcc, v5, v7
	v_subb_co_u32_e64 v10, s[0:1], v10, v11, vcc
	v_subrev_co_u32_e64 v11, s[0:1], s18, v7
	v_subbrev_co_u32_e64 v10, s[0:1], 0, v10, s[0:1]
	v_cmp_le_u32_e64 s[0:1], s19, v10
	v_cndmask_b32_e64 v12, 0, -1, s[0:1]
	v_cmp_le_u32_e64 s[0:1], s18, v11
	v_cndmask_b32_e64 v11, 0, -1, s[0:1]
	v_cmp_eq_u32_e64 s[0:1], s19, v10
	v_cndmask_b32_e64 v10, v12, v11, s[0:1]
	v_add_co_u32_e64 v11, s[0:1], 2, v4
	v_addc_co_u32_e64 v12, s[0:1], 0, v9, s[0:1]
	v_add_co_u32_e64 v13, s[0:1], 1, v4
	v_addc_co_u32_e64 v14, s[0:1], 0, v9, s[0:1]
	v_subb_co_u32_e32 v8, vcc, v6, v8, vcc
	v_cmp_ne_u32_e64 s[0:1], 0, v10
	v_cmp_le_u32_e32 vcc, s19, v8
	v_cndmask_b32_e64 v10, v14, v12, s[0:1]
	v_cndmask_b32_e64 v12, 0, -1, vcc
	v_cmp_le_u32_e32 vcc, s18, v7
	v_cndmask_b32_e64 v7, 0, -1, vcc
	v_cmp_eq_u32_e32 vcc, s19, v8
	v_cndmask_b32_e32 v7, v12, v7, vcc
	v_cmp_ne_u32_e32 vcc, 0, v7
	v_cndmask_b32_e64 v7, v13, v11, s[0:1]
	v_cndmask_b32_e32 v8, v9, v10, vcc
	v_cndmask_b32_e32 v7, v4, v7, vcc
.LBB0_4:                                ;   in Loop: Header=BB0_2 Depth=1
	s_andn2_saveexec_b64 s[0:1], s[20:21]
	s_cbranch_execz .LBB0_6
; %bb.5:                                ;   in Loop: Header=BB0_2 Depth=1
	v_cvt_f32_u32_e32 v4, s18
	s_sub_i32 s20, 0, s18
	v_rcp_iflag_f32_e32 v4, v4
	v_mul_f32_e32 v4, 0x4f7ffffe, v4
	v_cvt_u32_f32_e32 v4, v4
	v_mul_lo_u32 v7, s20, v4
	v_mul_hi_u32 v7, v4, v7
	v_add_u32_e32 v4, v4, v7
	v_mul_hi_u32 v4, v5, v4
	v_mul_lo_u32 v7, v4, s18
	v_add_u32_e32 v8, 1, v4
	v_sub_u32_e32 v7, v5, v7
	v_subrev_u32_e32 v9, s18, v7
	v_cmp_le_u32_e32 vcc, s18, v7
	v_cndmask_b32_e32 v7, v7, v9, vcc
	v_cndmask_b32_e32 v4, v4, v8, vcc
	v_add_u32_e32 v8, 1, v4
	v_cmp_le_u32_e32 vcc, s18, v7
	v_cndmask_b32_e32 v7, v4, v8, vcc
	v_mov_b32_e32 v8, v3
.LBB0_6:                                ;   in Loop: Header=BB0_2 Depth=1
	s_or_b64 exec, exec, s[0:1]
	v_mul_lo_u32 v4, v8, s18
	v_mul_lo_u32 v11, v7, s19
	v_mad_u64_u32 v[9:10], s[0:1], v7, s18, 0
	s_load_dwordx2 s[0:1], s[6:7], 0x0
	s_add_u32 s16, s16, 1
	v_add3_u32 v4, v10, v11, v4
	v_sub_co_u32_e32 v5, vcc, v5, v9
	v_subb_co_u32_e32 v4, vcc, v6, v4, vcc
	s_waitcnt lgkmcnt(0)
	v_mul_lo_u32 v4, s0, v4
	v_mul_lo_u32 v6, s1, v5
	v_mad_u64_u32 v[1:2], s[0:1], s0, v5, v[1:2]
	s_addc_u32 s17, s17, 0
	s_add_u32 s6, s6, 8
	v_add3_u32 v2, v6, v2, v4
	v_mov_b32_e32 v4, s10
	v_mov_b32_e32 v5, s11
	s_addc_u32 s7, s7, 0
	v_cmp_ge_u64_e32 vcc, s[16:17], v[4:5]
	s_add_u32 s14, s14, 8
	s_addc_u32 s15, s15, 0
	s_cbranch_vccnz .LBB0_9
; %bb.7:                                ;   in Loop: Header=BB0_2 Depth=1
	v_mov_b32_e32 v5, v7
	v_mov_b32_e32 v6, v8
	s_branch .LBB0_2
.LBB0_8:
	v_mov_b32_e32 v8, v6
	v_mov_b32_e32 v7, v5
.LBB0_9:
	s_lshl_b64 s[0:1], s[10:11], 3
	s_add_u32 s0, s12, s0
	s_addc_u32 s1, s13, s1
	s_load_dwordx2 s[6:7], s[0:1], 0x0
	s_load_dwordx2 s[10:11], s[4:5], 0x20
                                        ; implicit-def: $vgpr9
                                        ; implicit-def: $vgpr11
                                        ; implicit-def: $vgpr10
	s_waitcnt lgkmcnt(0)
	v_mul_lo_u32 v3, s6, v8
	v_mul_lo_u32 v4, s7, v7
	v_mad_u64_u32 v[1:2], s[0:1], s6, v7, v[1:2]
	v_cmp_gt_u64_e32 vcc, s[10:11], v[7:8]
	v_cmp_le_u64_e64 s[0:1], s[10:11], v[7:8]
	v_add3_u32 v2, v4, v2, v3
                                        ; implicit-def: $vgpr8
                                        ; implicit-def: $vgpr4
                                        ; implicit-def: $vgpr7
                                        ; implicit-def: $vgpr3
	s_and_saveexec_b64 s[4:5], s[0:1]
	s_xor_b64 s[0:1], exec, s[4:5]
; %bb.10:
	v_or_b32_e32 v9, 0x80, v0
	v_or_b32_e32 v8, 0x100, v0
	;; [unrolled: 1-line block ×7, first 2 shown]
; %bb.11:
	s_or_saveexec_b64 s[4:5], s[0:1]
	v_lshlrev_b64 v[5:6], 4, v[1:2]
	v_lshlrev_b32_e32 v15, 4, v0
	s_xor_b64 exec, exec, s[4:5]
	s_cbranch_execz .LBB0_13
; %bb.12:
	v_mov_b32_e32 v1, s3
	v_add_co_u32_e64 v9, s[0:1], s2, v5
	v_addc_co_u32_e64 v14, s[0:1], v1, v6, s[0:1]
	v_add_co_u32_e64 v1, s[0:1], v9, v15
	v_addc_co_u32_e64 v2, s[0:1], 0, v14, s[0:1]
	v_or_b32_e32 v8, 0x100, v0
	global_load_dwordx4 v[16:19], v[1:2], off
	global_load_dwordx4 v[20:23], v[1:2], off offset:2048
	v_lshlrev_b32_e32 v1, 4, v8
	v_add_co_u32_e64 v1, s[0:1], v9, v1
	v_or_b32_e32 v7, 0x180, v0
	v_addc_co_u32_e64 v2, s[0:1], 0, v14, s[0:1]
	v_lshlrev_b32_e32 v12, 4, v7
	v_or_b32_e32 v11, 0x200, v0
	v_add_co_u32_e64 v12, s[0:1], v9, v12
	v_lshlrev_b32_e32 v24, 4, v11
	v_addc_co_u32_e64 v13, s[0:1], 0, v14, s[0:1]
	v_or_b32_e32 v3, 0x280, v0
	v_add_co_u32_e64 v48, s[0:1], v9, v24
	v_lshlrev_b32_e32 v32, 4, v3
	v_addc_co_u32_e64 v49, s[0:1], 0, v14, s[0:1]
	v_or_b32_e32 v4, 0x300, v0
	global_load_dwordx4 v[24:27], v[1:2], off
	global_load_dwordx4 v[28:31], v[12:13], off
	v_add_co_u32_e64 v1, s[0:1], v9, v32
	v_lshlrev_b32_e32 v33, 4, v4
	v_addc_co_u32_e64 v2, s[0:1], 0, v14, s[0:1]
	v_or_b32_e32 v10, 0x380, v0
	v_add_co_u32_e64 v12, s[0:1], v9, v33
	v_lshlrev_b32_e32 v52, 4, v10
	v_addc_co_u32_e64 v13, s[0:1], 0, v14, s[0:1]
	v_add_co_u32_e64 v50, s[0:1], v9, v52
	v_addc_co_u32_e64 v51, s[0:1], 0, v14, s[0:1]
	global_load_dwordx4 v[32:35], v[48:49], off
	global_load_dwordx4 v[36:39], v[1:2], off
	;; [unrolled: 1-line block ×4, first 2 shown]
	v_add_u32_e32 v1, 0, v15
	v_or_b32_e32 v9, 0x80, v0
	v_add_u32_e32 v2, 0, v52
	s_waitcnt vmcnt(7)
	ds_write_b128 v1, v[16:19]
	s_waitcnt vmcnt(6)
	ds_write_b128 v1, v[20:23] offset:2048
	s_waitcnt vmcnt(5)
	ds_write_b128 v1, v[24:27] offset:4096
	;; [unrolled: 2-line block ×6, first 2 shown]
	s_waitcnt vmcnt(0)
	ds_write_b128 v2, v[44:47]
.LBB0_13:
	s_or_b64 exec, exec, s[4:5]
	v_add_u32_e32 v16, 0, v15
	s_waitcnt lgkmcnt(0)
	s_barrier
	ds_read_b128 v[17:20], v16 offset:8192
	ds_read_b128 v[21:24], v16
	ds_read_b128 v[25:28], v16 offset:12288
	ds_read_b128 v[29:32], v16 offset:2048
	;; [unrolled: 1-line block ×4, first 2 shown]
	s_waitcnt lgkmcnt(4)
	v_add_f64 v[1:2], v[21:22], -v[17:18]
	v_add_f64 v[12:13], v[23:24], -v[19:20]
	ds_read_b128 v[17:20], v16 offset:6144
	ds_read_b128 v[41:44], v16 offset:14336
	s_waitcnt lgkmcnt(3)
	v_add_f64 v[33:34], v[29:30], -v[33:34]
	s_waitcnt lgkmcnt(2)
	v_add_f64 v[25:26], v[37:38], -v[25:26]
	v_add_f64 v[27:28], v[39:40], -v[27:28]
	;; [unrolled: 1-line block ×3, first 2 shown]
	s_waitcnt lgkmcnt(0)
	v_add_f64 v[43:44], v[19:20], -v[43:44]
	v_add_f64 v[41:42], v[17:18], -v[41:42]
	v_fma_f64 v[21:22], v[21:22], 2.0, -v[1:2]
	v_fma_f64 v[23:24], v[23:24], 2.0, -v[12:13]
	;; [unrolled: 1-line block ×8, first 2 shown]
	v_add_f64 v[45:46], v[1:2], v[27:28]
	v_add_f64 v[47:48], v[12:13], -v[25:26]
	v_add_f64 v[27:28], v[33:34], v[43:44]
	v_add_f64 v[25:26], v[35:36], -v[41:42]
	v_add_f64 v[41:42], v[21:22], -v[37:38]
	;; [unrolled: 1-line block ×5, first 2 shown]
	v_fma_f64 v[1:2], v[1:2], 2.0, -v[45:46]
	v_fma_f64 v[12:13], v[12:13], 2.0, -v[47:48]
	v_fma_f64 v[33:34], v[33:34], 2.0, -v[27:28]
	v_fma_f64 v[35:36], v[35:36], 2.0, -v[25:26]
	s_mov_b32 s0, 0x667f3bcd
	s_mov_b32 s1, 0xbfe6a09e
	v_fma_f64 v[49:50], v[21:22], 2.0, -v[41:42]
	v_fma_f64 v[51:52], v[23:24], 2.0, -v[43:44]
	;; [unrolled: 1-line block ×4, first 2 shown]
	s_mov_b32 s5, 0x3fe6a09e
	s_mov_b32 s4, s0
	v_fma_f64 v[21:22], v[33:34], s[0:1], v[1:2]
	v_fma_f64 v[23:24], v[35:36], s[0:1], v[12:13]
	;; [unrolled: 1-line block ×4, first 2 shown]
	v_add_f64 v[17:18], v[49:50], -v[17:18]
	v_add_f64 v[19:20], v[51:52], -v[19:20]
	;; [unrolled: 1-line block ×3, first 2 shown]
	s_movk_i32 s6, 0x70
	v_fma_f64 v[21:22], v[35:36], s[4:5], v[21:22]
	v_fma_f64 v[23:24], v[33:34], s[0:1], v[23:24]
	;; [unrolled: 1-line block ×3, first 2 shown]
	v_add_f64 v[29:30], v[41:42], v[39:40]
	v_fma_f64 v[27:28], v[27:28], s[0:1], v[53:54]
	v_fma_f64 v[33:34], v[49:50], 2.0, -v[17:18]
	v_fma_f64 v[35:36], v[51:52], 2.0, -v[19:20]
	;; [unrolled: 1-line block ×8, first 2 shown]
	v_mad_u32_u24 v1, v0, s6, v16
	v_and_b32_e32 v14, 7, v0
	s_barrier
	ds_write_b128 v1, v[33:36]
	ds_write_b128 v1, v[37:40] offset:16
	ds_write_b128 v1, v[41:44] offset:32
	;; [unrolled: 1-line block ×7, first 2 shown]
	v_mul_u32_u24_e32 v1, 7, v14
	v_lshlrev_b32_e32 v58, 4, v1
	s_waitcnt lgkmcnt(0)
	s_barrier
	global_load_dwordx4 v[18:21], v58, s[8:9]
	global_load_dwordx4 v[22:25], v58, s[8:9] offset:16
	global_load_dwordx4 v[26:29], v58, s[8:9] offset:32
	;; [unrolled: 1-line block ×4, first 2 shown]
	v_lshl_add_u32 v17, v9, 4, 0
	ds_read_b128 v[38:41], v17
	ds_read_b128 v[42:45], v16 offset:14336
	ds_read_b128 v[46:49], v16 offset:4096
	ds_read_b128 v[50:53], v16
	s_movk_i32 s6, 0x3c0
	v_lshlrev_b32_e32 v60, 2, v0
	s_waitcnt vmcnt(4) lgkmcnt(3)
	v_mul_f64 v[1:2], v[40:41], v[20:21]
	v_mul_f64 v[12:13], v[38:39], v[20:21]
	s_waitcnt vmcnt(3) lgkmcnt(1)
	v_mul_f64 v[54:55], v[48:49], v[24:25]
	v_mul_f64 v[24:25], v[46:47], v[24:25]
	v_fma_f64 v[1:2], v[38:39], v[18:19], v[1:2]
	v_fma_f64 v[12:13], v[40:41], v[18:19], -v[12:13]
	ds_read_b128 v[18:21], v16 offset:6144
	ds_read_b128 v[38:41], v16 offset:8192
	v_fma_f64 v[46:47], v[46:47], v[22:23], v[54:55]
	v_fma_f64 v[48:49], v[48:49], v[22:23], -v[24:25]
	s_waitcnt vmcnt(2) lgkmcnt(1)
	v_mul_f64 v[22:23], v[20:21], v[28:29]
	v_mul_f64 v[24:25], v[18:19], v[28:29]
	s_waitcnt vmcnt(1) lgkmcnt(0)
	v_mul_f64 v[28:29], v[40:41], v[32:33]
	v_mul_f64 v[32:33], v[38:39], v[32:33]
	v_fma_f64 v[54:55], v[18:19], v[26:27], v[22:23]
	v_fma_f64 v[56:57], v[20:21], v[26:27], -v[24:25]
	ds_read_b128 v[18:21], v16 offset:10240
	global_load_dwordx4 v[22:25], v58, s[8:9] offset:80
	v_fma_f64 v[38:39], v[38:39], v[30:31], v[28:29]
	v_fma_f64 v[30:31], v[40:41], v[30:31], -v[32:33]
	ds_read_b128 v[26:29], v16 offset:12288
	s_waitcnt vmcnt(1) lgkmcnt(1)
	v_mul_f64 v[32:33], v[20:21], v[36:37]
	v_mul_f64 v[36:37], v[18:19], v[36:37]
	v_fma_f64 v[32:33], v[18:19], v[34:35], v[32:33]
	v_fma_f64 v[34:35], v[20:21], v[34:35], -v[36:37]
	global_load_dwordx4 v[18:21], v58, s[8:9] offset:96
	s_waitcnt vmcnt(0) lgkmcnt(0)
	s_barrier
	v_mul_f64 v[36:37], v[28:29], v[24:25]
	v_mul_f64 v[24:25], v[26:27], v[24:25]
	v_fma_f64 v[26:27], v[26:27], v[22:23], v[36:37]
	v_fma_f64 v[22:23], v[28:29], v[22:23], -v[24:25]
	v_lshlrev_b32_e32 v28, 3, v0
	v_and_or_b32 v14, v28, s6, v14
	v_add_f64 v[28:29], v[52:53], -v[30:31]
	v_add_f64 v[30:31], v[1:2], -v[32:33]
	v_mul_f64 v[24:25], v[42:43], v[20:21]
	v_mul_f64 v[20:21], v[44:45], v[20:21]
	v_add_f64 v[26:27], v[46:47], -v[26:27]
	v_add_f64 v[22:23], v[48:49], -v[22:23]
	v_add_f64 v[32:33], v[12:13], -v[34:35]
	v_lshl_add_u32 v14, v14, 4, 0
	v_fma_f64 v[36:37], v[52:53], 2.0, -v[28:29]
	v_fma_f64 v[1:2], v[1:2], 2.0, -v[30:31]
	v_fma_f64 v[24:25], v[44:45], v[18:19], -v[24:25]
	v_fma_f64 v[18:19], v[42:43], v[18:19], v[20:21]
	v_add_f64 v[20:21], v[50:51], -v[38:39]
	v_add_f64 v[40:41], v[28:29], -v[26:27]
	v_fma_f64 v[26:27], v[46:47], 2.0, -v[26:27]
	v_fma_f64 v[12:13], v[12:13], 2.0, -v[32:33]
	v_add_f64 v[24:25], v[56:57], -v[24:25]
	v_add_f64 v[18:19], v[54:55], -v[18:19]
	v_fma_f64 v[34:35], v[50:51], 2.0, -v[20:21]
	v_add_f64 v[38:39], v[20:21], v[22:23]
	v_fma_f64 v[22:23], v[48:49], 2.0, -v[22:23]
	v_fma_f64 v[50:51], v[28:29], 2.0, -v[40:41]
	;; [unrolled: 1-line block ×4, first 2 shown]
	v_add_f64 v[24:25], v[30:31], v[24:25]
	v_add_f64 v[46:47], v[32:33], -v[18:19]
	v_fma_f64 v[48:49], v[20:21], 2.0, -v[38:39]
	v_add_f64 v[52:53], v[34:35], -v[26:27]
	v_add_f64 v[54:55], v[36:37], -v[22:23]
	;; [unrolled: 1-line block ×4, first 2 shown]
	v_fma_f64 v[42:43], v[30:31], 2.0, -v[24:25]
	v_fma_f64 v[30:31], v[32:33], 2.0, -v[46:47]
	v_fma_f64 v[22:23], v[24:25], s[4:5], v[38:39]
	v_fma_f64 v[26:27], v[46:47], s[4:5], v[40:41]
	v_fma_f64 v[44:45], v[34:35], 2.0, -v[52:53]
	v_fma_f64 v[56:57], v[36:37], 2.0, -v[54:55]
	;; [unrolled: 1-line block ×4, first 2 shown]
	v_fma_f64 v[32:33], v[42:43], s[0:1], v[48:49]
	v_fma_f64 v[34:35], v[30:31], s[0:1], v[50:51]
	v_add_f64 v[18:19], v[52:53], v[18:19]
	v_add_f64 v[20:21], v[54:55], -v[20:21]
	v_fma_f64 v[22:23], v[46:47], s[4:5], v[22:23]
	v_fma_f64 v[24:25], v[24:25], s[0:1], v[26:27]
	v_add_f64 v[28:29], v[56:57], -v[12:13]
	v_add_f64 v[26:27], v[44:45], -v[1:2]
	v_fma_f64 v[30:31], v[30:31], s[4:5], v[32:33]
	v_fma_f64 v[32:33], v[42:43], s[0:1], v[34:35]
	v_fma_f64 v[34:35], v[52:53], 2.0, -v[18:19]
	v_fma_f64 v[36:37], v[54:55], 2.0, -v[20:21]
	;; [unrolled: 1-line block ×4, first 2 shown]
	s_movk_i32 s0, 0x100
	v_fma_f64 v[42:43], v[44:45], 2.0, -v[26:27]
	v_fma_f64 v[44:45], v[56:57], 2.0, -v[28:29]
	;; [unrolled: 1-line block ×4, first 2 shown]
	ds_write_b128 v14, v[18:21] offset:768
	ds_write_b128 v14, v[22:25] offset:896
	;; [unrolled: 1-line block ×6, first 2 shown]
	ds_write_b128 v14, v[42:45]
	ds_write_b128 v14, v[46:49] offset:128
	v_and_b32_e32 v14, 63, v0
	v_mul_u32_u24_e32 v1, 3, v14
	v_lshlrev_b32_e32 v1, 4, v1
	s_waitcnt lgkmcnt(0)
	s_barrier
	global_load_dwordx4 v[18:21], v1, s[8:9] offset:896
	global_load_dwordx4 v[22:25], v1, s[8:9] offset:912
	;; [unrolled: 1-line block ×3, first 2 shown]
	ds_read_b128 v[30:33], v16 offset:4096
	ds_read_b128 v[34:37], v16
	ds_read_b128 v[38:41], v16 offset:6144
	ds_read_b128 v[42:45], v16 offset:8192
	;; [unrolled: 1-line block ×4, first 2 shown]
	s_movk_i32 s1, 0x300
	s_add_u32 s4, s8, 0x3f80
	s_addc_u32 s5, s9, 0
	s_waitcnt vmcnt(2) lgkmcnt(5)
	v_mul_f64 v[1:2], v[32:33], v[20:21]
	v_mul_f64 v[12:13], v[30:31], v[20:21]
	s_waitcnt lgkmcnt(3)
	v_mul_f64 v[54:55], v[40:41], v[20:21]
	v_mul_f64 v[20:21], v[38:39], v[20:21]
	s_waitcnt vmcnt(0) lgkmcnt(0)
	v_mul_f64 v[56:57], v[52:53], v[28:29]
	v_mul_f64 v[58:59], v[50:51], v[28:29]
	v_fma_f64 v[1:2], v[30:31], v[18:19], v[1:2]
	v_fma_f64 v[12:13], v[32:33], v[18:19], -v[12:13]
	v_mul_f64 v[30:31], v[44:45], v[24:25]
	v_mul_f64 v[32:33], v[42:43], v[24:25]
	v_fma_f64 v[38:39], v[38:39], v[18:19], v[54:55]
	v_mul_f64 v[54:55], v[48:49], v[24:25]
	v_mul_f64 v[24:25], v[46:47], v[24:25]
	v_fma_f64 v[40:41], v[40:41], v[18:19], -v[20:21]
	ds_read_b128 v[18:21], v16 offset:14336
	v_fma_f64 v[30:31], v[42:43], v[22:23], v[30:31]
	v_fma_f64 v[32:33], v[44:45], v[22:23], -v[32:33]
	v_fma_f64 v[42:43], v[46:47], v[22:23], v[54:55]
	v_fma_f64 v[44:45], v[48:49], v[22:23], -v[24:25]
	ds_read_b128 v[22:25], v17
	s_waitcnt lgkmcnt(1)
	v_mul_f64 v[46:47], v[20:21], v[28:29]
	v_mul_f64 v[28:29], v[18:19], v[28:29]
	v_fma_f64 v[48:49], v[50:51], v[26:27], v[56:57]
	v_fma_f64 v[50:51], v[52:53], v[26:27], -v[58:59]
	v_mul_u32_u24_e32 v52, 3, v0
	v_and_or_b32 v53, v60, s0, v14
	v_lshlrev_b32_e32 v60, 4, v52
	v_lshl_add_u32 v61, v53, 4, 0
	v_fma_f64 v[18:19], v[18:19], v[26:27], v[46:47]
	v_fma_f64 v[20:21], v[20:21], v[26:27], -v[28:29]
	v_add_f64 v[46:47], v[34:35], -v[30:31]
	v_add_f64 v[52:53], v[36:37], -v[32:33]
	;; [unrolled: 1-line block ×4, first 2 shown]
	s_waitcnt lgkmcnt(0)
	v_add_f64 v[42:43], v[22:23], -v[42:43]
	v_add_f64 v[50:51], v[24:25], -v[44:45]
	;; [unrolled: 1-line block ×4, first 2 shown]
	v_lshlrev_b32_e32 v54, 2, v9
	v_and_or_b32 v14, v54, s1, v14
	v_fma_f64 v[48:49], v[34:35], 2.0, -v[46:47]
	v_fma_f64 v[54:55], v[36:37], 2.0, -v[52:53]
	;; [unrolled: 1-line block ×8, first 2 shown]
	v_add_f64 v[18:19], v[46:47], v[28:29]
	v_add_f64 v[20:21], v[52:53], -v[26:27]
	v_add_f64 v[22:23], v[42:43], v[30:31]
	v_add_f64 v[26:27], v[48:49], -v[1:2]
	v_add_f64 v[28:29], v[54:55], -v[12:13]
	v_lshl_add_u32 v14, v14, 4, 0
	v_add_f64 v[30:31], v[56:57], -v[24:25]
	v_add_f64 v[32:33], v[58:59], -v[32:33]
	;; [unrolled: 1-line block ×3, first 2 shown]
	v_fma_f64 v[34:35], v[46:47], 2.0, -v[18:19]
	v_fma_f64 v[36:37], v[52:53], 2.0, -v[20:21]
	;; [unrolled: 1-line block ×8, first 2 shown]
	s_barrier
	ds_write_b128 v61, v[18:21] offset:3072
	ds_write_b128 v61, v[34:37] offset:1024
	ds_write_b128 v61, v[26:29] offset:2048
	ds_write_b128 v61, v[42:45]
	ds_write_b128 v14, v[46:49]
	ds_write_b128 v14, v[38:41] offset:1024
	ds_write_b128 v14, v[30:33] offset:2048
	;; [unrolled: 1-line block ×3, first 2 shown]
	s_waitcnt lgkmcnt(0)
	s_barrier
	global_load_dwordx4 v[18:21], v60, s[8:9] offset:3968
	global_load_dwordx4 v[22:25], v60, s[8:9] offset:3984
	;; [unrolled: 1-line block ×3, first 2 shown]
	v_mul_i32_i24_e32 v1, 3, v9
	v_mov_b32_e32 v2, 0
	v_lshlrev_b64 v[1:2], 4, v[1:2]
	v_mov_b32_e32 v12, s9
	v_add_co_u32_e64 v1, s[0:1], s8, v1
	v_addc_co_u32_e64 v2, s[0:1], v12, v2, s[0:1]
	global_load_dwordx4 v[30:33], v[1:2], off offset:3968
	global_load_dwordx4 v[34:37], v[1:2], off offset:3984
	;; [unrolled: 1-line block ×3, first 2 shown]
	ds_read_b128 v[42:45], v16 offset:4096
	ds_read_b128 v[46:49], v16
	ds_read_b128 v[50:53], v16 offset:8192
	ds_read_b128 v[54:57], v16 offset:6144
	v_lshl_add_u32 v14, v11, 4, 0
	v_lshl_add_u32 v60, v10, 4, 0
	v_cmp_ne_u32_e64 s[0:1], 0, v0
	s_waitcnt vmcnt(5) lgkmcnt(3)
	v_mul_f64 v[1:2], v[44:45], v[20:21]
	v_mul_f64 v[12:13], v[42:43], v[20:21]
	s_waitcnt vmcnt(4) lgkmcnt(1)
	v_mul_f64 v[58:59], v[52:53], v[24:25]
	v_mul_f64 v[24:25], v[50:51], v[24:25]
	v_fma_f64 v[1:2], v[42:43], v[18:19], v[1:2]
	v_fma_f64 v[12:13], v[44:45], v[18:19], -v[12:13]
	ds_read_b128 v[18:21], v16 offset:12288
	v_fma_f64 v[42:43], v[50:51], v[22:23], v[58:59]
	v_fma_f64 v[44:45], v[52:53], v[22:23], -v[24:25]
	ds_read_b128 v[22:25], v16 offset:10240
	s_waitcnt vmcnt(2) lgkmcnt(2)
	v_mul_f64 v[52:53], v[56:57], v[32:33]
	s_waitcnt lgkmcnt(1)
	v_mul_f64 v[50:51], v[20:21], v[28:29]
	v_mul_f64 v[28:29], v[18:19], v[28:29]
	s_waitcnt vmcnt(1) lgkmcnt(0)
	v_mul_f64 v[58:59], v[24:25], v[36:37]
	v_mul_f64 v[36:37], v[22:23], v[36:37]
	v_fma_f64 v[52:53], v[54:55], v[30:31], v[52:53]
	v_fma_f64 v[50:51], v[18:19], v[26:27], v[50:51]
	v_mul_f64 v[18:19], v[54:55], v[32:33]
	v_fma_f64 v[20:21], v[20:21], v[26:27], -v[28:29]
	v_fma_f64 v[22:23], v[22:23], v[34:35], v[58:59]
	v_fma_f64 v[24:25], v[24:25], v[34:35], -v[36:37]
	v_lshl_add_u32 v58, v4, 4, 0
	v_lshl_add_u32 v59, v3, 4, 0
	v_add_f64 v[36:37], v[48:49], -v[44:45]
	v_fma_f64 v[54:55], v[56:57], v[30:31], -v[18:19]
	ds_read_b128 v[26:29], v16 offset:14336
	ds_read_b128 v[30:33], v17
	v_add_f64 v[20:21], v[12:13], -v[20:21]
	v_lshl_add_u32 v18, v8, 4, 0
	v_lshl_add_u32 v19, v7, 4, 0
	s_waitcnt vmcnt(0) lgkmcnt(1)
	v_mul_f64 v[56:57], v[28:29], v[40:41]
	v_mul_f64 v[34:35], v[26:27], v[40:41]
	s_waitcnt lgkmcnt(0)
	v_add_f64 v[44:45], v[32:33], -v[24:25]
	v_fma_f64 v[40:41], v[48:49], 2.0, -v[36:37]
	v_fma_f64 v[12:13], v[12:13], 2.0, -v[20:21]
	s_barrier
	v_fma_f64 v[3:4], v[26:27], v[38:39], v[56:57]
	v_fma_f64 v[10:11], v[28:29], v[38:39], -v[34:35]
	v_add_f64 v[28:29], v[46:47], -v[42:43]
	v_add_f64 v[26:27], v[1:2], -v[50:51]
	;; [unrolled: 1-line block ×6, first 2 shown]
	v_fma_f64 v[34:35], v[46:47], 2.0, -v[28:29]
	v_fma_f64 v[3:4], v[1:2], 2.0, -v[26:27]
	;; [unrolled: 1-line block ×4, first 2 shown]
	v_add_f64 v[1:2], v[28:29], v[20:21]
	v_fma_f64 v[30:31], v[52:53], 2.0, -v[22:23]
	v_fma_f64 v[32:33], v[54:55], 2.0, -v[24:25]
	v_add_f64 v[20:21], v[38:39], v[24:25]
	v_add_f64 v[10:11], v[34:35], -v[3:4]
	v_add_f64 v[3:4], v[36:37], -v[26:27]
	;; [unrolled: 1-line block ×3, first 2 shown]
	v_fma_f64 v[28:29], v[28:29], 2.0, -v[1:2]
	v_add_f64 v[24:25], v[42:43], -v[30:31]
	v_add_f64 v[26:27], v[46:47], -v[32:33]
	v_fma_f64 v[32:33], v[34:35], 2.0, -v[10:11]
	v_fma_f64 v[34:35], v[40:41], 2.0, -v[12:13]
	;; [unrolled: 1-line block ×7, first 2 shown]
	ds_write_b128 v16, v[32:35]
	ds_write_b128 v18, v[28:31]
	;; [unrolled: 1-line block ×8, first 2 shown]
	s_waitcnt lgkmcnt(0)
	s_barrier
	ds_read_b128 v[1:4], v16
	v_sub_u32_e32 v20, 0, v15
                                        ; implicit-def: $vgpr13_vgpr14
                                        ; implicit-def: $vgpr11_vgpr12
	s_and_saveexec_b64 s[6:7], s[0:1]
	s_xor_b64 s[0:1], exec, s[6:7]
	s_cbranch_execz .LBB0_15
; %bb.14:
	global_load_dwordx4 v[21:24], v15, s[4:5]
	ds_read_b128 v[10:13], v20 offset:16384
	s_waitcnt lgkmcnt(0)
	v_add_f64 v[25:26], v[1:2], -v[10:11]
	v_add_f64 v[27:28], v[3:4], v[12:13]
	v_add_f64 v[3:4], v[3:4], -v[12:13]
	v_add_f64 v[1:2], v[1:2], v[10:11]
	v_mul_f64 v[12:13], v[25:26], 0.5
	v_mul_f64 v[25:26], v[27:28], 0.5
	;; [unrolled: 1-line block ×3, first 2 shown]
	s_waitcnt vmcnt(0)
	v_mul_f64 v[10:11], v[12:13], v[23:24]
	v_fma_f64 v[27:28], v[25:26], v[23:24], v[3:4]
	v_fma_f64 v[3:4], v[25:26], v[23:24], -v[3:4]
	v_fma_f64 v[23:24], v[1:2], 0.5, v[10:11]
	v_fma_f64 v[1:2], v[1:2], 0.5, -v[10:11]
	v_fma_f64 v[27:28], -v[21:22], v[12:13], v[27:28]
	v_fma_f64 v[3:4], -v[21:22], v[12:13], v[3:4]
	ds_write_b64 v16, v[27:28] offset:8
	ds_write_b64 v20, v[3:4] offset:16392
	v_fma_f64 v[11:12], v[25:26], v[21:22], v[23:24]
	v_fma_f64 v[13:14], -v[25:26], v[21:22], v[1:2]
                                        ; implicit-def: $vgpr1_vgpr2
.LBB0_15:
	s_andn2_saveexec_b64 s[0:1], s[0:1]
	s_cbranch_execz .LBB0_17
; %bb.16:
	s_mov_b32 s6, 0
	s_mov_b32 s7, s6
	v_mov_b32_e32 v22, s7
	s_waitcnt lgkmcnt(0)
	v_add_f64 v[11:12], v[1:2], v[3:4]
	v_mov_b32_e32 v21, s6
	v_add_f64 v[13:14], v[1:2], -v[3:4]
	ds_write_b64 v16, v[21:22] offset:8
	ds_write_b64 v20, v[21:22] offset:16392
	v_mov_b32_e32 v3, 0
	ds_read_b64 v[1:2], v3 offset:8200
	s_waitcnt lgkmcnt(0)
	v_xor_b32_e32 v2, 0x80000000, v2
	ds_write_b64 v3, v[1:2] offset:8200
.LBB0_17:
	s_or_b64 exec, exec, s[0:1]
	v_mov_b32_e32 v10, 0
	s_waitcnt lgkmcnt(0)
	v_lshlrev_b64 v[1:2], 4, v[9:10]
	v_mov_b32_e32 v3, s5
	v_add_co_u32_e64 v1, s[0:1], s4, v1
	v_addc_co_u32_e64 v2, s[0:1], v3, v2, s[0:1]
	global_load_dwordx4 v[1:4], v[1:2], off
	v_mov_b32_e32 v9, v10
	v_lshlrev_b64 v[8:9], 4, v[8:9]
	v_mov_b32_e32 v21, s5
	v_add_co_u32_e64 v8, s[0:1], s4, v8
	v_addc_co_u32_e64 v9, s[0:1], v21, v9, s[0:1]
	global_load_dwordx4 v[21:24], v[8:9], off
	ds_write_b64 v16, v[11:12]
	ds_write_b64 v20, v[13:14] offset:16384
	ds_read_b128 v[11:14], v17
	ds_read_b128 v[25:28], v20 offset:14336
	s_waitcnt lgkmcnt(0)
	v_add_f64 v[8:9], v[11:12], -v[25:26]
	v_add_f64 v[29:30], v[13:14], v[27:28]
	v_add_f64 v[13:14], v[13:14], -v[27:28]
	v_add_f64 v[11:12], v[11:12], v[25:26]
	v_mul_f64 v[27:28], v[8:9], 0.5
	v_mul_f64 v[29:30], v[29:30], 0.5
	;; [unrolled: 1-line block ×3, first 2 shown]
	v_mov_b32_e32 v8, v10
	v_lshlrev_b64 v[7:8], 4, v[7:8]
	v_mov_b32_e32 v9, s5
	v_add_co_u32_e64 v7, s[0:1], s4, v7
	v_addc_co_u32_e64 v8, s[0:1], v9, v8, s[0:1]
	global_load_dwordx4 v[7:10], v[7:8], off
	s_waitcnt vmcnt(2)
	v_mul_f64 v[25:26], v[27:28], v[3:4]
	v_fma_f64 v[31:32], v[29:30], v[3:4], v[13:14]
	v_fma_f64 v[3:4], v[29:30], v[3:4], -v[13:14]
	v_fma_f64 v[13:14], v[11:12], 0.5, v[25:26]
	v_fma_f64 v[11:12], v[11:12], 0.5, -v[25:26]
	v_fma_f64 v[25:26], -v[1:2], v[27:28], v[31:32]
	v_fma_f64 v[3:4], -v[1:2], v[27:28], v[3:4]
	v_fma_f64 v[13:14], v[29:30], v[1:2], v[13:14]
	v_fma_f64 v[1:2], -v[29:30], v[1:2], v[11:12]
	ds_write2_b64 v17, v[13:14], v[25:26] offset1:1
	ds_write_b128 v20, v[1:4] offset:14336
	ds_read_b128 v[1:4], v18
	ds_read_b128 v[11:14], v20 offset:12288
	s_waitcnt lgkmcnt(0)
	v_add_f64 v[25:26], v[1:2], -v[11:12]
	v_add_f64 v[27:28], v[3:4], v[13:14]
	v_add_f64 v[3:4], v[3:4], -v[13:14]
	v_add_f64 v[1:2], v[1:2], v[11:12]
	v_mul_f64 v[13:14], v[25:26], 0.5
	v_mul_f64 v[25:26], v[27:28], 0.5
	;; [unrolled: 1-line block ×3, first 2 shown]
	s_waitcnt vmcnt(1)
	v_mul_f64 v[11:12], v[13:14], v[23:24]
	v_fma_f64 v[27:28], v[25:26], v[23:24], v[3:4]
	v_fma_f64 v[3:4], v[25:26], v[23:24], -v[3:4]
	v_fma_f64 v[23:24], v[1:2], 0.5, v[11:12]
	v_fma_f64 v[1:2], v[1:2], 0.5, -v[11:12]
	v_fma_f64 v[11:12], -v[21:22], v[13:14], v[27:28]
	v_fma_f64 v[3:4], -v[21:22], v[13:14], v[3:4]
	v_fma_f64 v[13:14], v[25:26], v[21:22], v[23:24]
	v_fma_f64 v[1:2], -v[25:26], v[21:22], v[1:2]
	ds_write2_b64 v18, v[13:14], v[11:12] offset1:1
	ds_write_b128 v20, v[1:4] offset:12288
	ds_read_b128 v[1:4], v19
	ds_read_b128 v[11:14], v20 offset:10240
	s_waitcnt lgkmcnt(0)
	v_add_f64 v[17:18], v[1:2], -v[11:12]
	v_add_f64 v[21:22], v[3:4], v[13:14]
	v_add_f64 v[3:4], v[3:4], -v[13:14]
	v_add_f64 v[1:2], v[1:2], v[11:12]
	v_mul_f64 v[13:14], v[17:18], 0.5
	v_mul_f64 v[17:18], v[21:22], 0.5
	;; [unrolled: 1-line block ×3, first 2 shown]
	s_waitcnt vmcnt(0)
	v_mul_f64 v[11:12], v[13:14], v[9:10]
	v_fma_f64 v[21:22], v[17:18], v[9:10], v[3:4]
	v_fma_f64 v[3:4], v[17:18], v[9:10], -v[3:4]
	v_fma_f64 v[9:10], v[1:2], 0.5, v[11:12]
	v_fma_f64 v[1:2], v[1:2], 0.5, -v[11:12]
	v_fma_f64 v[11:12], -v[7:8], v[13:14], v[21:22]
	v_fma_f64 v[3:4], -v[7:8], v[13:14], v[3:4]
	v_fma_f64 v[9:10], v[17:18], v[7:8], v[9:10]
	v_fma_f64 v[1:2], -v[17:18], v[7:8], v[1:2]
	ds_write2_b64 v19, v[9:10], v[11:12] offset1:1
	ds_write_b128 v20, v[1:4] offset:10240
	s_waitcnt lgkmcnt(0)
	s_barrier
	s_and_saveexec_b64 s[0:1], vcc
	s_cbranch_execz .LBB0_20
; %bb.18:
	v_mov_b32_e32 v1, s3
	v_add_co_u32_e32 v2, vcc, s2, v5
	v_addc_co_u32_e32 v1, vcc, v1, v6, vcc
	ds_read_b128 v[3:6], v16
	ds_read_b128 v[7:10], v16 offset:2048
	v_add_co_u32_e32 v11, vcc, v2, v15
	v_addc_co_u32_e32 v12, vcc, 0, v1, vcc
	s_waitcnt lgkmcnt(1)
	global_store_dwordx4 v[11:12], v[3:6], off
	s_waitcnt lgkmcnt(0)
	global_store_dwordx4 v[11:12], v[7:10], off offset:2048
	ds_read_b128 v[3:6], v16 offset:4096
	v_or_b32_e32 v7, 0x1000, v15
	v_add_co_u32_e32 v11, vcc, v2, v7
	ds_read_b128 v[7:10], v16 offset:6144
	v_addc_co_u32_e32 v12, vcc, 0, v1, vcc
	s_waitcnt lgkmcnt(1)
	global_store_dwordx4 v[11:12], v[3:6], off
	s_movk_i32 s0, 0x7f
	v_or_b32_e32 v3, 0x1800, v15
	v_add_co_u32_e32 v3, vcc, v2, v3
	v_addc_co_u32_e32 v4, vcc, 0, v1, vcc
	s_waitcnt lgkmcnt(0)
	global_store_dwordx4 v[3:4], v[7:10], off
	ds_read_b128 v[3:6], v16 offset:8192
	v_or_b32_e32 v7, 0x2000, v15
	v_add_co_u32_e32 v11, vcc, v2, v7
	ds_read_b128 v[7:10], v16 offset:10240
	v_addc_co_u32_e32 v12, vcc, 0, v1, vcc
	s_waitcnt lgkmcnt(1)
	global_store_dwordx4 v[11:12], v[3:6], off
	s_nop 0
	v_or_b32_e32 v3, 0x2800, v15
	v_add_co_u32_e32 v3, vcc, v2, v3
	v_addc_co_u32_e32 v4, vcc, 0, v1, vcc
	s_waitcnt lgkmcnt(0)
	global_store_dwordx4 v[3:4], v[7:10], off
	v_or_b32_e32 v3, 0x3000, v15
	v_add_co_u32_e32 v11, vcc, v2, v3
	ds_read_b128 v[3:6], v16 offset:12288
	v_mov_b32_e32 v7, 0x3800
	v_lshl_or_b32 v13, v0, 4, v7
	v_add_u32_e32 v7, 0, v13
	ds_read_b128 v[7:10], v7
	v_addc_co_u32_e32 v12, vcc, 0, v1, vcc
	s_waitcnt lgkmcnt(1)
	global_store_dwordx4 v[11:12], v[3:6], off
	s_nop 0
	v_add_co_u32_e32 v3, vcc, v2, v13
	v_addc_co_u32_e32 v4, vcc, 0, v1, vcc
	v_cmp_eq_u32_e32 vcc, s0, v0
	s_waitcnt lgkmcnt(0)
	global_store_dwordx4 v[3:4], v[7:10], off
	s_and_b64 exec, exec, vcc
	s_cbranch_execz .LBB0_20
; %bb.19:
	v_mov_b32_e32 v0, 0
	ds_read_b128 v[3:6], v0 offset:16384
	v_add_co_u32_e32 v0, vcc, 0x4000, v2
	v_addc_co_u32_e32 v1, vcc, 0, v1, vcc
	s_waitcnt lgkmcnt(0)
	global_store_dwordx4 v[0:1], v[3:6], off
.LBB0_20:
	s_endpgm
	.section	.rodata,"a",@progbits
	.p2align	6, 0x0
	.amdhsa_kernel fft_rtc_back_len1024_factors_8_8_4_4_wgs_128_tpt_128_halfLds_dp_ip_CI_unitstride_sbrr_R2C_dirReg
		.amdhsa_group_segment_fixed_size 0
		.amdhsa_private_segment_fixed_size 0
		.amdhsa_kernarg_size 88
		.amdhsa_user_sgpr_count 6
		.amdhsa_user_sgpr_private_segment_buffer 1
		.amdhsa_user_sgpr_dispatch_ptr 0
		.amdhsa_user_sgpr_queue_ptr 0
		.amdhsa_user_sgpr_kernarg_segment_ptr 1
		.amdhsa_user_sgpr_dispatch_id 0
		.amdhsa_user_sgpr_flat_scratch_init 0
		.amdhsa_user_sgpr_private_segment_size 0
		.amdhsa_uses_dynamic_stack 0
		.amdhsa_system_sgpr_private_segment_wavefront_offset 0
		.amdhsa_system_sgpr_workgroup_id_x 1
		.amdhsa_system_sgpr_workgroup_id_y 0
		.amdhsa_system_sgpr_workgroup_id_z 0
		.amdhsa_system_sgpr_workgroup_info 0
		.amdhsa_system_vgpr_workitem_id 0
		.amdhsa_next_free_vgpr 62
		.amdhsa_next_free_sgpr 22
		.amdhsa_reserve_vcc 1
		.amdhsa_reserve_flat_scratch 0
		.amdhsa_float_round_mode_32 0
		.amdhsa_float_round_mode_16_64 0
		.amdhsa_float_denorm_mode_32 3
		.amdhsa_float_denorm_mode_16_64 3
		.amdhsa_dx10_clamp 1
		.amdhsa_ieee_mode 1
		.amdhsa_fp16_overflow 0
		.amdhsa_exception_fp_ieee_invalid_op 0
		.amdhsa_exception_fp_denorm_src 0
		.amdhsa_exception_fp_ieee_div_zero 0
		.amdhsa_exception_fp_ieee_overflow 0
		.amdhsa_exception_fp_ieee_underflow 0
		.amdhsa_exception_fp_ieee_inexact 0
		.amdhsa_exception_int_div_zero 0
	.end_amdhsa_kernel
	.text
.Lfunc_end0:
	.size	fft_rtc_back_len1024_factors_8_8_4_4_wgs_128_tpt_128_halfLds_dp_ip_CI_unitstride_sbrr_R2C_dirReg, .Lfunc_end0-fft_rtc_back_len1024_factors_8_8_4_4_wgs_128_tpt_128_halfLds_dp_ip_CI_unitstride_sbrr_R2C_dirReg
                                        ; -- End function
	.section	.AMDGPU.csdata,"",@progbits
; Kernel info:
; codeLenInByte = 5844
; NumSgprs: 26
; NumVgprs: 62
; ScratchSize: 0
; MemoryBound: 0
; FloatMode: 240
; IeeeMode: 1
; LDSByteSize: 0 bytes/workgroup (compile time only)
; SGPRBlocks: 3
; VGPRBlocks: 15
; NumSGPRsForWavesPerEU: 26
; NumVGPRsForWavesPerEU: 62
; Occupancy: 4
; WaveLimiterHint : 1
; COMPUTE_PGM_RSRC2:SCRATCH_EN: 0
; COMPUTE_PGM_RSRC2:USER_SGPR: 6
; COMPUTE_PGM_RSRC2:TRAP_HANDLER: 0
; COMPUTE_PGM_RSRC2:TGID_X_EN: 1
; COMPUTE_PGM_RSRC2:TGID_Y_EN: 0
; COMPUTE_PGM_RSRC2:TGID_Z_EN: 0
; COMPUTE_PGM_RSRC2:TIDIG_COMP_CNT: 0
	.type	__hip_cuid_bde1260c429e8d30,@object ; @__hip_cuid_bde1260c429e8d30
	.section	.bss,"aw",@nobits
	.globl	__hip_cuid_bde1260c429e8d30
__hip_cuid_bde1260c429e8d30:
	.byte	0                               ; 0x0
	.size	__hip_cuid_bde1260c429e8d30, 1

	.ident	"AMD clang version 19.0.0git (https://github.com/RadeonOpenCompute/llvm-project roc-6.4.0 25133 c7fe45cf4b819c5991fe208aaa96edf142730f1d)"
	.section	".note.GNU-stack","",@progbits
	.addrsig
	.addrsig_sym __hip_cuid_bde1260c429e8d30
	.amdgpu_metadata
---
amdhsa.kernels:
  - .args:
      - .actual_access:  read_only
        .address_space:  global
        .offset:         0
        .size:           8
        .value_kind:     global_buffer
      - .offset:         8
        .size:           8
        .value_kind:     by_value
      - .actual_access:  read_only
        .address_space:  global
        .offset:         16
        .size:           8
        .value_kind:     global_buffer
      - .actual_access:  read_only
        .address_space:  global
        .offset:         24
        .size:           8
        .value_kind:     global_buffer
      - .offset:         32
        .size:           8
        .value_kind:     by_value
      - .actual_access:  read_only
        .address_space:  global
        .offset:         40
        .size:           8
        .value_kind:     global_buffer
      - .actual_access:  read_only
        .address_space:  global
        .offset:         48
        .size:           8
        .value_kind:     global_buffer
      - .offset:         56
        .size:           4
        .value_kind:     by_value
      - .actual_access:  read_only
        .address_space:  global
        .offset:         64
        .size:           8
        .value_kind:     global_buffer
      - .actual_access:  read_only
        .address_space:  global
        .offset:         72
        .size:           8
        .value_kind:     global_buffer
      - .address_space:  global
        .offset:         80
        .size:           8
        .value_kind:     global_buffer
    .group_segment_fixed_size: 0
    .kernarg_segment_align: 8
    .kernarg_segment_size: 88
    .language:       OpenCL C
    .language_version:
      - 2
      - 0
    .max_flat_workgroup_size: 128
    .name:           fft_rtc_back_len1024_factors_8_8_4_4_wgs_128_tpt_128_halfLds_dp_ip_CI_unitstride_sbrr_R2C_dirReg
    .private_segment_fixed_size: 0
    .sgpr_count:     26
    .sgpr_spill_count: 0
    .symbol:         fft_rtc_back_len1024_factors_8_8_4_4_wgs_128_tpt_128_halfLds_dp_ip_CI_unitstride_sbrr_R2C_dirReg.kd
    .uniform_work_group_size: 1
    .uses_dynamic_stack: false
    .vgpr_count:     62
    .vgpr_spill_count: 0
    .wavefront_size: 64
amdhsa.target:   amdgcn-amd-amdhsa--gfx906
amdhsa.version:
  - 1
  - 2
...

	.end_amdgpu_metadata
